;; amdgpu-corpus repo=FlagOpen/FlagGems kind=triton arch=gfx950 opt=O3 lang=triton
	.amdgcn_target "amdgcn-amd-amdhsa--gfx950"
	.amdhsa_code_object_version 5
	.text
	.globl	nll_loss_forward_kernel         ; -- Begin function nll_loss_forward_kernel
	.p2align	8
	.type	nll_loss_forward_kernel,@function
nll_loss_forward_kernel:                ; @nll_loss_forward_kernel
.Lfunc_begin0:
	.cfi_sections .debug_frame
	.cfi_startproc
; %bb.48:
	.file	1 "/root/src/amdgpu-assembly/repos/FlagOpen__FlagGems/triton_aot_kernels" "nllloss_aot.py"
	.loc	1 8 0 prologue_end              ; nllloss_aot.py:8:0
	s_load_dwordx2 s[2:3], s[0:1], 0x0
	s_load_dwordx8 s[4:11], s[0:1], 0x8
	s_load_dwordx4 s[12:15], s[0:1], 0x28
	s_waitcnt lgkmcnt(0)
	s_branch .LBB0_0
	.loc	1 0 0 is_stmt 0                 ; :0:0
.Ltmp0:
	.p2align	8
; %bb.49:
.LBB0_0:
.Ltmp1:
	.loc	1 51 34 is_stmt 1               ; nllloss_aot.py:51:34
	v_readfirstlane_b32 s13, v0
	.loc	1 20 24                         ; nllloss_aot.py:20:24
	s_lshl_b32 s14, s16, 10
	.loc	1 20 47 is_stmt 0               ; nllloss_aot.py:20:47
	s_and_b32 s15, s13, 0xc0
	v_and_b32_e32 v1, 63, v0
	.loc	1 20 34                         ; nllloss_aot.py:20:34
	s_or_b32 s14, s15, s14
	v_or_b32_e32 v6, s14, v1
	.loc	1 24 28 is_stmt 1               ; nllloss_aot.py:24:28
	v_ashrrev_i32_e32 v7, 31, v6
	.loc	1 24 18 is_stmt 0               ; nllloss_aot.py:24:18
	v_mov_b64_e32 v[4:5], 0
	.loc	1 22 25 is_stmt 1               ; nllloss_aot.py:22:25
	v_cmp_gt_i32_e64 s[20:21], s11, v6
	.loc	1 24 28                         ; nllloss_aot.py:24:28
	v_lshl_add_u64 v[12:13], v[6:7], 3, s[4:5]
	v_mov_b64_e32 v[10:11], v[4:5]
	.loc	1 24 18 is_stmt 0               ; nllloss_aot.py:24:18
	s_and_saveexec_b64 s[4:5], s[20:21]
	s_cbranch_execz .LBB0_2
; %bb.1:
	global_load_dwordx2 v[10:11], v[12:13], off
.LBB0_2:
	.loc	1 0 18                          ; nllloss_aot.py:0:18
	s_or_b64 exec, exec, s[4:5]
	.loc	1 20 34 is_stmt 1               ; nllloss_aot.py:20:34
	v_or_b32_e32 v17, 0x100, v6
	.loc	1 22 25                         ; nllloss_aot.py:22:25
	v_cmp_gt_i32_e64 s[14:15], s11, v17
	.loc	1 24 18                         ; nllloss_aot.py:24:18
	s_and_saveexec_b64 s[4:5], s[14:15]
	s_cbranch_execz .LBB0_4
; %bb.3:
	global_load_dwordx2 v[4:5], v[12:13], off offset:2048
.LBB0_4:
	.loc	1 0 18 is_stmt 0                ; nllloss_aot.py:0:18
	s_or_b64 exec, exec, s[4:5]
	.loc	1 20 34 is_stmt 1               ; nllloss_aot.py:20:34
	v_or_b32_e32 v15, 0x200, v6
	.loc	1 24 18                         ; nllloss_aot.py:24:18
	v_mov_b64_e32 v[2:3], 0
	.loc	1 22 25                         ; nllloss_aot.py:22:25
	v_cmp_gt_i32_e64 s[18:19], s11, v15
	v_mov_b64_e32 v[8:9], v[2:3]
	.loc	1 24 18                         ; nllloss_aot.py:24:18
	s_and_saveexec_b64 s[4:5], s[18:19]
	s_cbranch_execz .LBB0_6
; %bb.5:
	v_add_co_u32_e32 v8, vcc, 0x1000, v12
	s_nop 1
	v_addc_co_u32_e32 v9, vcc, 0, v13, vcc
	global_load_dwordx2 v[8:9], v[8:9], off
.LBB0_6:
	.loc	1 0 18 is_stmt 0                ; nllloss_aot.py:0:18
	s_or_b64 exec, exec, s[4:5]
	.loc	1 20 34 is_stmt 1               ; nllloss_aot.py:20:34
	v_or_b32_e32 v16, 0x300, v6
	.loc	1 22 25                         ; nllloss_aot.py:22:25
	v_cmp_gt_i32_e64 s[16:17], s11, v16
	.loc	1 24 18                         ; nllloss_aot.py:24:18
	s_and_saveexec_b64 s[4:5], s[16:17]
	s_cbranch_execz .LBB0_8
; %bb.7:
	v_add_co_u32_e32 v2, vcc, 0x1000, v12
	s_nop 1
	v_addc_co_u32_e32 v3, vcc, 0, v13, vcc
	global_load_dwordx2 v[2:3], v[2:3], off offset:2048
.LBB0_8:
	.loc	1 0 18 is_stmt 0                ; nllloss_aot.py:0:18
	s_or_b64 exec, exec, s[4:5]
	.loc	1 26 30 is_stmt 1               ; nllloss_aot.py:26:30
	s_ashr_i32 s11, s10, 31
	s_waitcnt vmcnt(0)
	v_cmp_ne_u64_e32 vcc, s[10:11], v[10:11]
	.loc	1 31 26                         ; nllloss_aot.py:31:26
	v_mov_b32_e32 v7, 0
	.loc	1 26 48                         ; nllloss_aot.py:26:48
	s_and_b64 s[22:23], s[20:21], vcc
	v_mov_b32_e32 v12, v7
	.loc	1 31 26                         ; nllloss_aot.py:31:26
	s_and_saveexec_b64 s[4:5], s[22:23]
	s_cbranch_execz .LBB0_10
; %bb.9:
	.loc	1 0 26 is_stmt 0                ; nllloss_aot.py:0:26
	v_lshl_add_u64 v[12:13], v[10:11], 2, s[6:7]
	.loc	1 31 26                         ; nllloss_aot.py:31:26
	global_load_dword v12, v[12:13], off
.LBB0_10:
	.loc	1 0 26                          ; nllloss_aot.py:0:26
	s_or_b64 exec, exec, s[4:5]
	.loc	1 26 30 is_stmt 1               ; nllloss_aot.py:26:30
	v_cmp_ne_u64_e32 vcc, s[10:11], v[4:5]
	.loc	1 26 48 is_stmt 0               ; nllloss_aot.py:26:48
	s_and_b64 s[20:21], s[14:15], vcc
	.loc	1 31 26 is_stmt 1               ; nllloss_aot.py:31:26
	s_and_saveexec_b64 s[4:5], s[20:21]
	s_cbranch_execz .LBB0_12
; %bb.11:
	.loc	1 31 36 is_stmt 0               ; nllloss_aot.py:31:36
	v_lshl_add_u64 v[18:19], v[4:5], 2, s[6:7]
	.loc	1 31 26                         ; nllloss_aot.py:31:26
	global_load_dword v7, v[18:19], off
.LBB0_12:
	.loc	1 0 26                          ; nllloss_aot.py:0:26
	s_or_b64 exec, exec, s[4:5]
	.loc	1 26 30 is_stmt 1               ; nllloss_aot.py:26:30
	v_cmp_ne_u64_e32 vcc, s[10:11], v[8:9]
	.loc	1 31 26                         ; nllloss_aot.py:31:26
	v_mov_b32_e32 v13, 0
	.loc	1 26 48                         ; nllloss_aot.py:26:48
	s_and_b64 s[14:15], s[18:19], vcc
	v_mov_b32_e32 v14, v13
	.loc	1 31 26                         ; nllloss_aot.py:31:26
	s_and_saveexec_b64 s[4:5], s[14:15]
	s_cbranch_execz .LBB0_14
; %bb.13:
	.loc	1 31 36 is_stmt 0               ; nllloss_aot.py:31:36
	v_lshl_add_u64 v[18:19], v[8:9], 2, s[6:7]
	.loc	1 31 26                         ; nllloss_aot.py:31:26
	global_load_dword v14, v[18:19], off
.LBB0_14:
	.loc	1 0 26                          ; nllloss_aot.py:0:26
	s_or_b64 exec, exec, s[4:5]
	.loc	1 26 30 is_stmt 1               ; nllloss_aot.py:26:30
	v_cmp_ne_u64_e32 vcc, s[10:11], v[2:3]
	.loc	1 26 48 is_stmt 0               ; nllloss_aot.py:26:48
	s_and_b64 s[4:5], s[16:17], vcc
	.loc	1 31 26 is_stmt 1               ; nllloss_aot.py:31:26
	s_and_saveexec_b64 s[10:11], s[4:5]
	s_cbranch_execz .LBB0_16
; %bb.15:
	.loc	1 31 36 is_stmt 0               ; nllloss_aot.py:31:36
	v_lshl_add_u64 v[18:19], v[2:3], 2, s[6:7]
	.loc	1 31 26                         ; nllloss_aot.py:31:26
	global_load_dword v13, v[18:19], off
.LBB0_16:
	.loc	1 0 26                          ; nllloss_aot.py:0:26
	s_or_b64 exec, exec, s[10:11]
	.loc	1 34 22 is_stmt 1               ; nllloss_aot.py:34:22
	v_mov_b32_e32 v18, 0
	v_mov_b32_e32 v19, v18
	s_and_saveexec_b64 s[6:7], s[22:23]
	s_cbranch_execz .LBB0_18
; %bb.17:
	.loc	1 0 22 is_stmt 0                ; nllloss_aot.py:0:22
	v_mul_lo_u32 v20, v6, s12
	v_ashrrev_i32_e32 v21, 31, v20
	v_lshl_add_u64 v[20:21], v[20:21], 2, s[2:3]
	v_lshl_add_u64 v[10:11], v[10:11], 2, v[20:21]
	.loc	1 34 22                         ; nllloss_aot.py:34:22
	global_load_dword v19, v[10:11], off
.LBB0_18:
	.loc	1 0 22                          ; nllloss_aot.py:0:22
	s_or_b64 exec, exec, s[6:7]
	.loc	1 34 22                         ; nllloss_aot.py:34:22
	s_and_saveexec_b64 s[6:7], s[20:21]
	s_cbranch_execz .LBB0_20
; %bb.19:
	.loc	1 33 41 is_stmt 1               ; nllloss_aot.py:33:41
	v_mul_lo_u32 v10, v17, s12
	.loc	1 33 29 is_stmt 0               ; nllloss_aot.py:33:29
	v_ashrrev_i32_e32 v11, 31, v10
	v_lshl_add_u64 v[10:11], v[10:11], 2, s[2:3]
	.loc	1 33 45                         ; nllloss_aot.py:33:45
	v_lshl_add_u64 v[4:5], v[4:5], 2, v[10:11]
	.loc	1 34 22 is_stmt 1               ; nllloss_aot.py:34:22
	global_load_dword v18, v[4:5], off
.LBB0_20:
	.loc	1 0 22 is_stmt 0                ; nllloss_aot.py:0:22
	s_or_b64 exec, exec, s[6:7]
	.loc	1 34 22                         ; nllloss_aot.py:34:22
	v_mov_b32_e32 v4, 0
	v_mov_b32_e32 v5, v4
	s_and_saveexec_b64 s[6:7], s[14:15]
	s_cbranch_execz .LBB0_22
; %bb.21:
	.loc	1 33 41 is_stmt 1               ; nllloss_aot.py:33:41
	v_mul_lo_u32 v10, v15, s12
	.loc	1 33 29 is_stmt 0               ; nllloss_aot.py:33:29
	v_ashrrev_i32_e32 v11, 31, v10
	v_lshl_add_u64 v[10:11], v[10:11], 2, s[2:3]
	.loc	1 33 45                         ; nllloss_aot.py:33:45
	v_lshl_add_u64 v[8:9], v[8:9], 2, v[10:11]
	.loc	1 34 22 is_stmt 1               ; nllloss_aot.py:34:22
	global_load_dword v5, v[8:9], off
.LBB0_22:
	.loc	1 0 22 is_stmt 0                ; nllloss_aot.py:0:22
	s_or_b64 exec, exec, s[6:7]
	.loc	1 34 22                         ; nllloss_aot.py:34:22
	s_and_saveexec_b64 s[6:7], s[4:5]
	s_cbranch_execz .LBB0_24
; %bb.23:
	.loc	1 33 41 is_stmt 1               ; nllloss_aot.py:33:41
	v_mul_lo_u32 v8, v16, s12
	.loc	1 33 29 is_stmt 0               ; nllloss_aot.py:33:29
	v_ashrrev_i32_e32 v9, 31, v8
	v_lshl_add_u64 v[8:9], v[8:9], 2, s[2:3]
	.loc	1 33 45                         ; nllloss_aot.py:33:45
	v_lshl_add_u64 v[2:3], v[2:3], 2, v[8:9]
	.loc	1 34 22 is_stmt 1               ; nllloss_aot.py:34:22
	global_load_dword v4, v[2:3], off
.LBB0_24:
	.loc	1 0 22 is_stmt 0                ; nllloss_aot.py:0:22
	s_or_b64 exec, exec, s[6:7]
.Ltmp2:
	.file	2 "/root/.local/lib/python3.13/site-packages/triton/language" "standard.py"
	.loc	2 263 15 is_stmt 1              ; standard.py:263:15 @[ standard.py:293:36 @[ nllloss_aot.py:42:27 ] ]
	s_waitcnt vmcnt(0)
	v_mul_f32_e32 v2, v12, v19
	v_fma_f32 v2, v18, -v7, -v2
	v_fma_f32 v2, -v14, v5, v2
	v_fma_f32 v2, -v13, v4, v2
.Ltmp3:
	.loc	2 293 36                        ; standard.py:293:36 @[ nllloss_aot.py:42:27 ]
	s_lshr_b32 s2, s13, 4
	s_and_b32 s2, s2, 12
.Ltmp4:
	.loc	2 263 15                        ; standard.py:263:15 @[ standard.py:293:36 @[ nllloss_aot.py:42:27 ] ]
	v_add_f32_dpp v2, v2, v2 row_shr:8 row_mask:0xf bank_mask:0xf bound_ctrl:1
.Ltmp5:
	.loc	2 293 36                        ; standard.py:293:36 @[ nllloss_aot.py:42:27 ]
	v_cmp_eq_u32_e32 vcc, 0, v1
	s_add_i32 s10, s2, 0
.Ltmp6:
	.loc	2 263 15                        ; standard.py:263:15 @[ standard.py:293:36 @[ nllloss_aot.py:42:27 ] ]
	v_add_f32_dpp v2, v2, v2 row_shr:4 row_mask:0xf bank_mask:0xf bound_ctrl:1
	s_nop 1
	v_add_f32_dpp v2, v2, v2 row_shr:2 row_mask:0xf bank_mask:0xf bound_ctrl:1
	s_nop 1
	v_add_f32_dpp v2, v2, v2 row_shr:1 row_mask:0xf bank_mask:0xf bound_ctrl:1
.Ltmp7:
	.loc	2 293 36                        ; standard.py:293:36 @[ nllloss_aot.py:42:27 ]
	v_mov_b32_e32 v3, v2
	s_nop 1
	v_mov_b32_dpp v3, v3 row_bcast:15 row_mask:0xa bank_mask:0xf bound_ctrl:1
.Ltmp8:
	.loc	2 263 15                        ; standard.py:263:15 @[ standard.py:293:36 @[ nllloss_aot.py:42:27 ] ]
	v_add_f32_e32 v2, v3, v2
	s_nop 1
	v_add_f32_dpp v2, v2, v2 row_bcast:31 row_mask:0xf bank_mask:0xf bound_ctrl:1
.Ltmp9:
	.loc	2 293 36                        ; standard.py:293:36 @[ nllloss_aot.py:42:27 ]
	s_nop 0
	v_readlane_b32 s4, v2, 63
	s_and_saveexec_b64 s[2:3], vcc
; %bb.25:
	v_mov_b32_e32 v2, s10
	v_mov_b32_e32 v3, s4
	ds_write_b32 v2, v3
; %bb.26:
	.loc	2 0 36 is_stmt 0                ; standard.py:0:36
	s_or_b64 exec, exec, s[2:3]
	.loc	2 293 36                        ; standard.py:293:36 @[ nllloss_aot.py:42:27 ]
	v_cmp_gt_u32_e64 s[2:3], 4, v0
	v_lshl_add_u32 v2, v0, 2, 0
.Ltmp10:
	.loc	1 42 27 is_stmt 1               ; nllloss_aot.py:42:27
	v_mov_b32_e32 v3, 0
.Ltmp11:
	.loc	2 293 36                        ; standard.py:293:36 @[ nllloss_aot.py:42:27 ]
	s_waitcnt lgkmcnt(0)
	s_barrier
	s_and_saveexec_b64 s[4:5], s[2:3]
; %bb.27:
	ds_read_b32 v3, v2
; %bb.28:
	.loc	2 0 36 is_stmt 0                ; standard.py:0:36
	s_or_b64 exec, exec, s[4:5]
	.loc	2 293 36                        ; standard.py:293:36 @[ nllloss_aot.py:42:27 ]
	s_waitcnt lgkmcnt(0)
	v_mov_b32_e32 v4, v3
	v_and_b32_e32 v0, 3, v0
	v_cmp_eq_u32_e64 s[4:5], 0, v0
	v_mov_b32_dpp v4, v4 quad_perm:[2,3,0,1] row_mask:0xf bank_mask:0xf
.Ltmp12:
	.loc	2 263 15 is_stmt 1              ; standard.py:263:15 @[ standard.py:293:36 @[ nllloss_aot.py:42:27 ] ]
	v_add_f32_e32 v3, v3, v4
.Ltmp13:
	.loc	2 293 36                        ; standard.py:293:36 @[ nllloss_aot.py:42:27 ]
	v_mov_b32_e32 v4, v3
	s_and_b64 s[4:5], s[2:3], s[4:5]
	s_nop 0
	v_mov_b32_dpp v4, v4 quad_perm:[1,0,3,2] row_mask:0xf bank_mask:0xf
	s_and_saveexec_b64 s[6:7], s[4:5]
; %bb.29:
	.loc	2 0 36 is_stmt 0                ; standard.py:0:36
	v_add_f32_e32 v0, v3, v4
	.loc	2 293 36                        ; standard.py:293:36 @[ nllloss_aot.py:42:27 ]
	ds_write_b32 v2, v0
.Ltmp14:
; %bb.30:
	.loc	2 0 36                          ; standard.py:0:36
	s_or_b64 exec, exec, s[6:7]
.Ltmp15:
	.loc	2 263 15 is_stmt 1              ; standard.py:263:15 @[ standard.py:293:36 @[ nllloss_aot.py:43:27 ] ]
	v_add_f32_e32 v3, v12, v7
	v_add_f32_e32 v3, v3, v14
	;; [unrolled: 1-line block ×3, first 2 shown]
.Ltmp16:
	.loc	2 293 36                        ; standard.py:293:36 @[ nllloss_aot.py:42:27 ]
	v_mov_b32_e32 v0, 0
	s_waitcnt lgkmcnt(0)
.Ltmp17:
	.loc	2 263 15                        ; standard.py:263:15 @[ standard.py:293:36 @[ nllloss_aot.py:43:27 ] ]
	v_add_f32_dpp v3, v3, v3 row_shr:8 row_mask:0xf bank_mask:0xf bound_ctrl:1
.Ltmp18:
	.loc	2 293 36                        ; standard.py:293:36 @[ nllloss_aot.py:42:27 ]
	s_barrier
	ds_read_b32 v0, v0
.Ltmp19:
	.loc	2 263 15                        ; standard.py:263:15 @[ standard.py:293:36 @[ nllloss_aot.py:43:27 ] ]
	v_add_f32_dpp v3, v3, v3 row_shr:4 row_mask:0xf bank_mask:0xf bound_ctrl:1
.Ltmp20:
	.loc	2 293 36                        ; standard.py:293:36 @[ nllloss_aot.py:43:27 ]
	s_waitcnt lgkmcnt(0)
	s_barrier
.Ltmp21:
	.loc	2 263 15                        ; standard.py:263:15 @[ standard.py:293:36 @[ nllloss_aot.py:43:27 ] ]
	v_add_f32_dpp v3, v3, v3 row_shr:2 row_mask:0xf bank_mask:0xf bound_ctrl:1
	s_nop 1
	v_add_f32_dpp v3, v3, v3 row_shr:1 row_mask:0xf bank_mask:0xf bound_ctrl:1
.Ltmp22:
	.loc	2 293 36                        ; standard.py:293:36 @[ nllloss_aot.py:43:27 ]
	v_mov_b32_e32 v4, v3
	s_nop 1
	v_mov_b32_dpp v4, v4 row_bcast:15 row_mask:0xa bank_mask:0xf bound_ctrl:1
.Ltmp23:
	.loc	2 263 15                        ; standard.py:263:15 @[ standard.py:293:36 @[ nllloss_aot.py:43:27 ] ]
	v_add_f32_e32 v3, v3, v4
	s_nop 1
	v_add_f32_dpp v3, v3, v3 row_bcast:31 row_mask:0xf bank_mask:0xf bound_ctrl:1
.Ltmp24:
	.loc	2 293 36                        ; standard.py:293:36 @[ nllloss_aot.py:43:27 ]
	s_nop 0
	v_readlane_b32 s11, v3, 63
	s_and_saveexec_b64 s[6:7], vcc
; %bb.31:
	v_mov_b32_e32 v3, s10
	v_mov_b32_e32 v4, s11
	ds_write_b32 v3, v4
.Ltmp25:
; %bb.32:
	.loc	2 0 36 is_stmt 0                ; standard.py:0:36
	s_or_b64 exec, exec, s[6:7]
	.loc	1 43 27 is_stmt 1               ; nllloss_aot.py:43:27
	v_mov_b32_e32 v3, 0
.Ltmp26:
	.loc	2 293 36                        ; standard.py:293:36 @[ nllloss_aot.py:43:27 ]
	s_waitcnt lgkmcnt(0)
	s_barrier
	s_and_saveexec_b64 s[6:7], s[2:3]
; %bb.33:
	ds_read_b32 v3, v2
; %bb.34:
	.loc	2 0 36 is_stmt 0                ; standard.py:0:36
	s_or_b64 exec, exec, s[6:7]
	.loc	2 293 36                        ; standard.py:293:36 @[ nllloss_aot.py:43:27 ]
	s_waitcnt lgkmcnt(0)
	v_mov_b32_e32 v4, v3
	s_nop 1
	v_mov_b32_dpp v4, v4 quad_perm:[2,3,0,1] row_mask:0xf bank_mask:0xf
.Ltmp27:
	.loc	2 263 15 is_stmt 1              ; standard.py:263:15 @[ standard.py:293:36 @[ nllloss_aot.py:43:27 ] ]
	v_add_f32_e32 v3, v3, v4
.Ltmp28:
	.loc	2 293 36                        ; standard.py:293:36 @[ nllloss_aot.py:43:27 ]
	v_mov_b32_e32 v4, v3
	s_nop 1
	v_mov_b32_dpp v4, v4 quad_perm:[1,0,3,2] row_mask:0xf bank_mask:0xf
	s_and_saveexec_b64 s[2:3], s[4:5]
; %bb.35:
	.loc	2 0 36 is_stmt 0                ; standard.py:0:36
	v_add_f32_e32 v3, v3, v4
	.loc	2 293 36                        ; standard.py:293:36 @[ nllloss_aot.py:43:27 ]
	ds_write_b32 v2, v3
; %bb.36:
	.loc	2 0 36                          ; standard.py:0:36
	s_or_b64 exec, exec, s[2:3]
	.loc	2 293 36                        ; standard.py:293:36 @[ nllloss_aot.py:43:27 ]
	v_mov_b32_e32 v2, 0
	s_waitcnt lgkmcnt(0)
	s_barrier
	ds_read_b32 v2, v2
.Ltmp29:
	.loc	1 51 34 is_stmt 1               ; nllloss_aot.py:51:34
	s_lshr_b32 s2, s13, 6
	.loc	1 44 31                         ; nllloss_aot.py:44:31
	v_or_b32_e32 v1, s2, v1
	v_cmp_ne_u32_e32 vcc, 0, v1
	v_cmp_eq_u32_e64 s[2:3], 0, v1
	s_and_saveexec_b64 s[6:7], s[2:3]
	s_cbranch_execz .LBB0_39
; %bb.37:
	s_mov_b64 s[10:11], exec
	v_mbcnt_lo_u32_b32 v1, s10, 0
	v_mbcnt_hi_u32_b32 v1, s11, v1
	v_cmp_eq_u32_e64 s[4:5], 0, v1
	s_and_b64 s[4:5], exec, s[4:5]
	s_mov_b64 exec, s[4:5]
	s_cbranch_execz .LBB0_39
; %bb.38:
	s_bcnt1_i32_b64 s4, s[10:11]
	v_cvt_f32_ubyte0_e32 v1, s4
	v_mul_f32_e32 v0, v0, v1
	v_mov_b32_e32 v1, 0
	global_atomic_add_f32 v1, v0, s[8:9]
.LBB0_39:
	.loc	1 0 31 is_stmt 0                ; nllloss_aot.py:0:31
	s_or_b64 exec, exec, s[6:7]
	.loc	1 45 32 is_stmt 1               ; nllloss_aot.py:45:32
	s_and_saveexec_b64 s[6:7], s[2:3]
	s_cbranch_execz .LBB0_42
; %bb.40:
	s_mov_b64 s[10:11], exec
	v_mbcnt_lo_u32_b32 v0, s10, 0
	v_mbcnt_hi_u32_b32 v0, s11, v0
	v_cmp_eq_u32_e64 s[4:5], 0, v0
	s_and_b64 s[4:5], exec, s[4:5]
	s_mov_b64 exec, s[4:5]
	s_cbranch_execz .LBB0_42
; %bb.41:
	s_bcnt1_i32_b64 s4, s[10:11]
	v_cvt_f32_ubyte0_e32 v0, s4
	s_waitcnt lgkmcnt(0)
	v_mul_f32_e32 v0, v2, v0
	v_mov_b32_e32 v1, 0
	global_atomic_add_f32 v1, v0, s[8:9] offset:4
.LBB0_42:
	.loc	1 0 32 is_stmt 0                ; nllloss_aot.py:0:32
	s_or_b64 exec, exec, s[6:7]
	.loc	1 46 32 is_stmt 1               ; nllloss_aot.py:46:32
	s_and_saveexec_b64 s[4:5], s[2:3]
	s_cbranch_execz .LBB0_45
; %bb.43:
	s_mov_b64 s[6:7], exec
	v_mbcnt_lo_u32_b32 v0, s6, 0
	v_mbcnt_hi_u32_b32 v0, s7, v0
	v_cmp_eq_u32_e64 s[2:3], 0, v0
	s_and_b64 s[2:3], exec, s[2:3]
	s_mov_b64 exec, s[2:3]
	s_cbranch_execz .LBB0_45
; %bb.44:
	s_bcnt1_i32_b64 s2, s[6:7]
	v_cvt_f32_ubyte0_e32 v0, s2
	v_mov_b32_e32 v1, 0
	buffer_wbl2 sc1
	s_waitcnt vmcnt(0) lgkmcnt(0)
	global_atomic_add_f32 v1, v0, s[8:9] offset:8
.LBB0_45:
	.loc	1 0 32 is_stmt 0                ; nllloss_aot.py:0:32
	s_or_b64 exec, exec, s[4:5]
	.loc	1 47 26 is_stmt 1               ; nllloss_aot.py:47:26
	v_mov_b32_e32 v0, 0
	global_load_dword v1, v0, s[8:9] offset:8
	.loc	1 48 38                         ; nllloss_aot.py:48:38
	s_load_dword s0, s[0:1], 0x40
	.loc	1 48 11 is_stmt 0               ; nllloss_aot.py:48:11
	s_xor_b64 s[2:3], vcc, -1
	.loc	1 48 22                         ; nllloss_aot.py:48:22
	s_waitcnt lgkmcnt(0)
	v_cvt_f32_i32_e32 v2, s0
	s_waitcnt vmcnt(0)
	v_cmp_eq_f32_e64 s[0:1], v1, v2
	s_and_b64 s[0:1], s[2:3], s[0:1]
	.loc	1 48 11                         ; nllloss_aot.py:48:11
	s_and_saveexec_b64 s[2:3], s[0:1]
	s_cbranch_execz .LBB0_47
; %bb.46:
	.loc	1 49 32 is_stmt 1               ; nllloss_aot.py:49:32
	global_load_dwordx2 v[2:3], v0, s[8:9]
	.loc	1 51 46                         ; nllloss_aot.py:51:46
	s_waitcnt vmcnt(0)
	v_div_scale_f32 v1, s[0:1], v3, v3, v2
	v_rcp_f32_e32 v4, v1
	v_div_scale_f32 v5, vcc, v2, v3, v2
	v_fma_f32 v6, -v1, v4, 1.0
	v_fmac_f32_e32 v4, v6, v4
	v_mul_f32_e32 v6, v5, v4
	v_fma_f32 v7, -v1, v6, v5
	v_fmac_f32_e32 v6, v7, v4
	v_fma_f32 v1, -v1, v6, v5
	v_div_fmas_f32 v1, v1, v4, v6
	v_div_fixup_f32 v1, v1, v3, v2
	.loc	1 51 34 is_stmt 0               ; nllloss_aot.py:51:34
	global_store_dword v0, v1, s[8:9] offset:12
.LBB0_47:
	.loc	1 38 4 is_stmt 1                ; nllloss_aot.py:38:4
	s_endpgm
.Ltmp30:
	.section	.rodata,"a",@progbits
	.p2align	6, 0x0
	.amdhsa_kernel nll_loss_forward_kernel
		.amdhsa_group_segment_fixed_size 0
		.amdhsa_private_segment_fixed_size 0
		.amdhsa_kernarg_size 320
		.amdhsa_user_sgpr_count 16
		.amdhsa_user_sgpr_dispatch_ptr 0
		.amdhsa_user_sgpr_queue_ptr 0
		.amdhsa_user_sgpr_kernarg_segment_ptr 1
		.amdhsa_user_sgpr_dispatch_id 0
		.amdhsa_user_sgpr_kernarg_preload_length 14
		.amdhsa_user_sgpr_kernarg_preload_offset 0
		.amdhsa_user_sgpr_private_segment_size 0
		.amdhsa_uses_dynamic_stack 0
		.amdhsa_enable_private_segment 0
		.amdhsa_system_sgpr_workgroup_id_x 1
		.amdhsa_system_sgpr_workgroup_id_y 0
		.amdhsa_system_sgpr_workgroup_id_z 0
		.amdhsa_system_sgpr_workgroup_info 0
		.amdhsa_system_vgpr_workitem_id 0
		.amdhsa_next_free_vgpr 22
		.amdhsa_next_free_sgpr 24
		.amdhsa_accum_offset 24
		.amdhsa_reserve_vcc 1
		.amdhsa_reserve_xnack_mask 1
		.amdhsa_float_round_mode_32 0
		.amdhsa_float_round_mode_16_64 0
		.amdhsa_float_denorm_mode_32 3
		.amdhsa_float_denorm_mode_16_64 3
		.amdhsa_dx10_clamp 1
		.amdhsa_ieee_mode 1
		.amdhsa_fp16_overflow 0
		.amdhsa_tg_split 0
		.amdhsa_exception_fp_ieee_invalid_op 0
		.amdhsa_exception_fp_denorm_src 0
		.amdhsa_exception_fp_ieee_div_zero 0
		.amdhsa_exception_fp_ieee_overflow 0
		.amdhsa_exception_fp_ieee_underflow 0
		.amdhsa_exception_fp_ieee_inexact 0
		.amdhsa_exception_int_div_zero 0
	.end_amdhsa_kernel
	.text
.Lfunc_end0:
	.size	nll_loss_forward_kernel, .Lfunc_end0-nll_loss_forward_kernel
	.cfi_endproc
                                        ; -- End function
	.set nll_loss_forward_kernel.num_vgpr, 22
	.set nll_loss_forward_kernel.num_agpr, 0
	.set nll_loss_forward_kernel.numbered_sgpr, 24
	.set nll_loss_forward_kernel.num_named_barrier, 0
	.set nll_loss_forward_kernel.private_seg_size, 0
	.set nll_loss_forward_kernel.uses_vcc, 1
	.set nll_loss_forward_kernel.uses_flat_scratch, 0
	.set nll_loss_forward_kernel.has_dyn_sized_stack, 0
	.set nll_loss_forward_kernel.has_recursion, 0
	.set nll_loss_forward_kernel.has_indirect_call, 0
	.section	.AMDGPU.csdata,"",@progbits
; Kernel info:
; codeLenInByte = 1792
; TotalNumSgprs: 30
; NumVgprs: 22
; NumAgprs: 0
; TotalNumVgprs: 22
; ScratchSize: 0
; MemoryBound: 0
; FloatMode: 240
; IeeeMode: 1
; LDSByteSize: 0 bytes/workgroup (compile time only)
; SGPRBlocks: 3
; VGPRBlocks: 2
; NumSGPRsForWavesPerEU: 30
; NumVGPRsForWavesPerEU: 22
; AccumOffset: 24
; Occupancy: 8
; WaveLimiterHint : 0
; COMPUTE_PGM_RSRC2:SCRATCH_EN: 0
; COMPUTE_PGM_RSRC2:USER_SGPR: 16
; COMPUTE_PGM_RSRC2:TRAP_HANDLER: 0
; COMPUTE_PGM_RSRC2:TGID_X_EN: 1
; COMPUTE_PGM_RSRC2:TGID_Y_EN: 0
; COMPUTE_PGM_RSRC2:TGID_Z_EN: 0
; COMPUTE_PGM_RSRC2:TIDIG_COMP_CNT: 0
; COMPUTE_PGM_RSRC3_GFX90A:ACCUM_OFFSET: 5
; COMPUTE_PGM_RSRC3_GFX90A:TG_SPLIT: 0
	.text
	.p2alignl 6, 3212836864
	.fill 256, 4, 3212836864
	.section	.AMDGPU.gpr_maximums,"",@progbits
	.set amdgpu.max_num_vgpr, 0
	.set amdgpu.max_num_agpr, 0
	.set amdgpu.max_num_sgpr, 0
	.set amdgpu.max_num_named_barrier, 0
	.text
	.section	.debug_abbrev,"",@progbits
	.byte	1                               ; Abbreviation Code
	.byte	17                              ; DW_TAG_compile_unit
	.byte	1                               ; DW_CHILDREN_yes
	.byte	37                              ; DW_AT_producer
	.byte	14                              ; DW_FORM_strp
	.byte	19                              ; DW_AT_language
	.byte	5                               ; DW_FORM_data2
	.byte	3                               ; DW_AT_name
	.byte	14                              ; DW_FORM_strp
	.byte	16                              ; DW_AT_stmt_list
	.byte	23                              ; DW_FORM_sec_offset
	.byte	27                              ; DW_AT_comp_dir
	.byte	14                              ; DW_FORM_strp
	.byte	17                              ; DW_AT_low_pc
	.byte	1                               ; DW_FORM_addr
	.byte	18                              ; DW_AT_high_pc
	.byte	6                               ; DW_FORM_data4
	.byte	0                               ; EOM(1)
	.byte	0                               ; EOM(2)
	.byte	2                               ; Abbreviation Code
	.byte	46                              ; DW_TAG_subprogram
	.byte	0                               ; DW_CHILDREN_no
	.byte	3                               ; DW_AT_name
	.byte	14                              ; DW_FORM_strp
	.byte	32                              ; DW_AT_inline
	.byte	11                              ; DW_FORM_data1
	.byte	0                               ; EOM(1)
	.byte	0                               ; EOM(2)
	.byte	3                               ; Abbreviation Code
	.byte	46                              ; DW_TAG_subprogram
	.byte	1                               ; DW_CHILDREN_yes
	.byte	17                              ; DW_AT_low_pc
	.byte	1                               ; DW_FORM_addr
	.byte	18                              ; DW_AT_high_pc
	.byte	6                               ; DW_FORM_data4
	.byte	49                              ; DW_AT_abstract_origin
	.byte	19                              ; DW_FORM_ref4
	.byte	0                               ; EOM(1)
	.byte	0                               ; EOM(2)
	.byte	4                               ; Abbreviation Code
	.byte	29                              ; DW_TAG_inlined_subroutine
	.byte	1                               ; DW_CHILDREN_yes
	.byte	49                              ; DW_AT_abstract_origin
	.byte	19                              ; DW_FORM_ref4
	.byte	85                              ; DW_AT_ranges
	.byte	23                              ; DW_FORM_sec_offset
	.byte	88                              ; DW_AT_call_file
	.byte	11                              ; DW_FORM_data1
	.byte	89                              ; DW_AT_call_line
	.byte	11                              ; DW_FORM_data1
	.byte	87                              ; DW_AT_call_column
	.byte	11                              ; DW_FORM_data1
	.byte	0                               ; EOM(1)
	.byte	0                               ; EOM(2)
	.byte	5                               ; Abbreviation Code
	.byte	29                              ; DW_TAG_inlined_subroutine
	.byte	0                               ; DW_CHILDREN_no
	.byte	49                              ; DW_AT_abstract_origin
	.byte	19                              ; DW_FORM_ref4
	.byte	85                              ; DW_AT_ranges
	.byte	23                              ; DW_FORM_sec_offset
	.byte	88                              ; DW_AT_call_file
	.byte	11                              ; DW_FORM_data1
	.byte	89                              ; DW_AT_call_line
	.byte	5                               ; DW_FORM_data2
	.byte	87                              ; DW_AT_call_column
	.byte	11                              ; DW_FORM_data1
	.byte	0                               ; EOM(1)
	.byte	0                               ; EOM(2)
	;; [unrolled: 1-line block ×3, first 2 shown]
	.section	.debug_info,"",@progbits
.Lcu_begin0:
	.long	.Ldebug_info_end0-.Ldebug_info_start0 ; Length of Unit
.Ldebug_info_start0:
	.short	4                               ; DWARF version number
	.long	.debug_abbrev                   ; Offset Into Abbrev. Section
	.byte	8                               ; Address Size (in bytes)
	.byte	1                               ; Abbrev [1] 0xb:0x6c DW_TAG_compile_unit
	.long	.Linfo_string0                  ; DW_AT_producer
	.short	2                               ; DW_AT_language
	.long	.Linfo_string1                  ; DW_AT_name
	.long	.Lline_table_start0             ; DW_AT_stmt_list
	.long	.Linfo_string2                  ; DW_AT_comp_dir
	.quad	.Lfunc_begin0                   ; DW_AT_low_pc
	.long	.Lfunc_end0-.Lfunc_begin0       ; DW_AT_high_pc
	.byte	2                               ; Abbrev [2] 0x2a:0x6 DW_TAG_subprogram
	.long	.Linfo_string3                  ; DW_AT_name
	.byte	1                               ; DW_AT_inline
	.byte	3                               ; Abbrev [3] 0x30:0x46 DW_TAG_subprogram
	.quad	.Lfunc_begin0                   ; DW_AT_low_pc
	.long	.Lfunc_end0-.Lfunc_begin0       ; DW_AT_high_pc
	.long	42                              ; DW_AT_abstract_origin
	.byte	4                               ; Abbrev [4] 0x41:0x1a DW_TAG_inlined_subroutine
	.long	42                              ; DW_AT_abstract_origin
	.long	.Ldebug_ranges0                 ; DW_AT_ranges
	.byte	1                               ; DW_AT_call_file
	.byte	42                              ; DW_AT_call_line
	.byte	27                              ; DW_AT_call_column
	.byte	5                               ; Abbrev [5] 0x4d:0xd DW_TAG_inlined_subroutine
	.long	42                              ; DW_AT_abstract_origin
	.long	.Ldebug_ranges1                 ; DW_AT_ranges
	.byte	2                               ; DW_AT_call_file
	.short	293                             ; DW_AT_call_line
	.byte	36                              ; DW_AT_call_column
	.byte	0                               ; End Of Children Mark
	.byte	4                               ; Abbrev [4] 0x5b:0x1a DW_TAG_inlined_subroutine
	.long	42                              ; DW_AT_abstract_origin
	.long	.Ldebug_ranges2                 ; DW_AT_ranges
	.byte	1                               ; DW_AT_call_file
	.byte	43                              ; DW_AT_call_line
	.byte	27                              ; DW_AT_call_column
	.byte	5                               ; Abbrev [5] 0x67:0xd DW_TAG_inlined_subroutine
	.long	42                              ; DW_AT_abstract_origin
	.long	.Ldebug_ranges3                 ; DW_AT_ranges
	.byte	2                               ; DW_AT_call_file
	.short	293                             ; DW_AT_call_line
	.byte	36                              ; DW_AT_call_column
	.byte	0                               ; End Of Children Mark
	.byte	0                               ; End Of Children Mark
	;; [unrolled: 1-line block ×3, first 2 shown]
.Ldebug_info_end0:
	.section	.debug_ranges,"",@progbits
.Ldebug_ranges0:
	.quad	.Ltmp2-.Lfunc_begin0
	.quad	.Ltmp10-.Lfunc_begin0
	;; [unrolled: 1-line block ×8, first 2 shown]
	.quad	0
	.quad	0
.Ldebug_ranges1:
	.quad	.Ltmp2-.Lfunc_begin0
	.quad	.Ltmp3-.Lfunc_begin0
	;; [unrolled: 1-line block ×10, first 2 shown]
	.quad	0
	.quad	0
.Ldebug_ranges2:
	.quad	.Ltmp15-.Lfunc_begin0
	.quad	.Ltmp16-.Lfunc_begin0
	;; [unrolled: 1-line block ×8, first 2 shown]
	.quad	0
	.quad	0
.Ldebug_ranges3:
	.quad	.Ltmp15-.Lfunc_begin0
	.quad	.Ltmp16-.Lfunc_begin0
	;; [unrolled: 1-line block ×12, first 2 shown]
	.quad	0
	.quad	0
	.section	.debug_str,"MS",@progbits,1
.Linfo_string0:
	.asciz	"triton"                        ; string offset=0
.Linfo_string1:
	.asciz	"nllloss_aot.py"                ; string offset=7
.Linfo_string2:
	.asciz	"/root/src/amdgpu-assembly/repos/FlagOpen__FlagGems/triton_aot_kernels" ; string offset=22
.Linfo_string3:
	.asciz	"nll_loss_forward_kernel"       ; string offset=92
	.section	".note.GNU-stack","",@progbits
	.amdgpu_metadata
---
amdhsa.kernels:
  - .agpr_count:     0
    .args:
      - .address_space:  global
        .offset:         0
        .size:           8
        .value_kind:     global_buffer
      - .address_space:  global
        .offset:         8
        .size:           8
        .value_kind:     global_buffer
      - .address_space:  global
        .offset:         16
        .size:           8
        .value_kind:     global_buffer
      - .address_space:  global
        .offset:         24
        .size:           8
        .value_kind:     global_buffer
      - .offset:         32
        .size:           4
        .value_kind:     by_value
      - .offset:         36
        .size:           4
        .value_kind:     by_value
      - .offset:         40
        .size:           4
        .value_kind:     by_value
      - .address_space:  global
        .offset:         48
        .size:           8
        .value_kind:     global_buffer
      - .address_space:  global
        .offset:         56
        .size:           8
        .value_kind:     global_buffer
      - .offset:         64
        .size:           4
        .value_kind:     hidden_block_count_x
      - .offset:         68
        .size:           4
        .value_kind:     hidden_block_count_y
      - .offset:         72
        .size:           4
        .value_kind:     hidden_block_count_z
      - .offset:         76
        .size:           2
        .value_kind:     hidden_group_size_x
      - .offset:         78
        .size:           2
        .value_kind:     hidden_group_size_y
      - .offset:         80
        .size:           2
        .value_kind:     hidden_group_size_z
      - .offset:         82
        .size:           2
        .value_kind:     hidden_remainder_x
      - .offset:         84
        .size:           2
        .value_kind:     hidden_remainder_y
      - .offset:         86
        .size:           2
        .value_kind:     hidden_remainder_z
      - .offset:         104
        .size:           8
        .value_kind:     hidden_global_offset_x
      - .offset:         112
        .size:           8
        .value_kind:     hidden_global_offset_y
      - .offset:         120
        .size:           8
        .value_kind:     hidden_global_offset_z
      - .offset:         128
        .size:           2
        .value_kind:     hidden_grid_dims
      - .offset:         184
        .size:           4
        .value_kind:     hidden_dynamic_lds_size
    .group_segment_fixed_size: 0
    .kernarg_segment_align: 8
    .kernarg_segment_size: 320
    .max_flat_workgroup_size: 256
    .name:           nll_loss_forward_kernel
    .private_segment_fixed_size: 0
    .sgpr_count:     30
    .sgpr_spill_count: 0
    .symbol:         nll_loss_forward_kernel.kd
    .uniform_work_group_size: 1
    .uses_dynamic_stack: false
    .vgpr_count:     22
    .vgpr_spill_count: 0
    .wavefront_size: 64
amdhsa.target:   amdgcn-amd-amdhsa--gfx950
amdhsa.version:
  - 1
  - 2
...

	.end_amdgpu_metadata
	.section	.debug_line,"",@progbits
.Lline_table_start0:
